;; amdgpu-corpus repo=ROCm/rocFFT kind=compiled arch=gfx1030 opt=O3
	.text
	.amdgcn_target "amdgcn-amd-amdhsa--gfx1030"
	.amdhsa_code_object_version 6
	.protected	fft_rtc_fwd_len784_factors_2_2_2_2_7_7_wgs_56_tpt_56_halfLds_half_op_CI_CI_unitstride_sbrr_R2C_dirReg ; -- Begin function fft_rtc_fwd_len784_factors_2_2_2_2_7_7_wgs_56_tpt_56_halfLds_half_op_CI_CI_unitstride_sbrr_R2C_dirReg
	.globl	fft_rtc_fwd_len784_factors_2_2_2_2_7_7_wgs_56_tpt_56_halfLds_half_op_CI_CI_unitstride_sbrr_R2C_dirReg
	.p2align	8
	.type	fft_rtc_fwd_len784_factors_2_2_2_2_7_7_wgs_56_tpt_56_halfLds_half_op_CI_CI_unitstride_sbrr_R2C_dirReg,@function
fft_rtc_fwd_len784_factors_2_2_2_2_7_7_wgs_56_tpt_56_halfLds_half_op_CI_CI_unitstride_sbrr_R2C_dirReg: ; @fft_rtc_fwd_len784_factors_2_2_2_2_7_7_wgs_56_tpt_56_halfLds_half_op_CI_CI_unitstride_sbrr_R2C_dirReg
; %bb.0:
	s_clause 0x2
	s_load_dwordx4 s[12:15], s[4:5], 0x0
	s_load_dwordx4 s[8:11], s[4:5], 0x58
	;; [unrolled: 1-line block ×3, first 2 shown]
	v_mul_u32_u24_e32 v1, 0x493, v0
	v_mov_b32_e32 v3, 0
	v_add_nc_u32_sdwa v5, s6, v1 dst_sel:DWORD dst_unused:UNUSED_PAD src0_sel:DWORD src1_sel:WORD_1
	v_mov_b32_e32 v1, 0
	v_mov_b32_e32 v6, v3
	v_mov_b32_e32 v2, 0
	s_waitcnt lgkmcnt(0)
	v_cmp_lt_u64_e64 s0, s[14:15], 2
	s_and_b32 vcc_lo, exec_lo, s0
	s_cbranch_vccnz .LBB0_8
; %bb.1:
	s_load_dwordx2 s[0:1], s[4:5], 0x10
	v_mov_b32_e32 v1, 0
	v_mov_b32_e32 v2, 0
	s_add_u32 s2, s18, 8
	s_addc_u32 s3, s19, 0
	s_add_u32 s6, s16, 8
	s_addc_u32 s7, s17, 0
	v_mov_b32_e32 v9, v2
	v_mov_b32_e32 v8, v1
	s_mov_b64 s[22:23], 1
	s_waitcnt lgkmcnt(0)
	s_add_u32 s20, s0, 8
	s_addc_u32 s21, s1, 0
.LBB0_2:                                ; =>This Inner Loop Header: Depth=1
	s_load_dwordx2 s[24:25], s[20:21], 0x0
                                        ; implicit-def: $vgpr12_vgpr13
	s_mov_b32 s0, exec_lo
	s_waitcnt lgkmcnt(0)
	v_or_b32_e32 v4, s25, v6
	v_cmpx_ne_u64_e32 0, v[3:4]
	s_xor_b32 s1, exec_lo, s0
	s_cbranch_execz .LBB0_4
; %bb.3:                                ;   in Loop: Header=BB0_2 Depth=1
	v_cvt_f32_u32_e32 v4, s24
	v_cvt_f32_u32_e32 v7, s25
	s_sub_u32 s0, 0, s24
	s_subb_u32 s26, 0, s25
	v_fmac_f32_e32 v4, 0x4f800000, v7
	v_rcp_f32_e32 v4, v4
	v_mul_f32_e32 v4, 0x5f7ffffc, v4
	v_mul_f32_e32 v7, 0x2f800000, v4
	v_trunc_f32_e32 v7, v7
	v_fmac_f32_e32 v4, 0xcf800000, v7
	v_cvt_u32_f32_e32 v7, v7
	v_cvt_u32_f32_e32 v4, v4
	v_mul_lo_u32 v10, s0, v7
	v_mul_hi_u32 v11, s0, v4
	v_mul_lo_u32 v12, s26, v4
	v_add_nc_u32_e32 v10, v11, v10
	v_mul_lo_u32 v11, s0, v4
	v_add_nc_u32_e32 v10, v10, v12
	v_mul_hi_u32 v12, v4, v11
	v_mul_lo_u32 v13, v4, v10
	v_mul_hi_u32 v14, v4, v10
	v_mul_hi_u32 v15, v7, v11
	v_mul_lo_u32 v11, v7, v11
	v_mul_hi_u32 v16, v7, v10
	v_mul_lo_u32 v10, v7, v10
	v_add_co_u32 v12, vcc_lo, v12, v13
	v_add_co_ci_u32_e32 v13, vcc_lo, 0, v14, vcc_lo
	v_add_co_u32 v11, vcc_lo, v12, v11
	v_add_co_ci_u32_e32 v11, vcc_lo, v13, v15, vcc_lo
	v_add_co_ci_u32_e32 v12, vcc_lo, 0, v16, vcc_lo
	v_add_co_u32 v10, vcc_lo, v11, v10
	v_add_co_ci_u32_e32 v11, vcc_lo, 0, v12, vcc_lo
	v_add_co_u32 v4, vcc_lo, v4, v10
	v_add_co_ci_u32_e32 v7, vcc_lo, v7, v11, vcc_lo
	v_mul_hi_u32 v10, s0, v4
	v_mul_lo_u32 v12, s26, v4
	v_mul_lo_u32 v11, s0, v7
	v_add_nc_u32_e32 v10, v10, v11
	v_mul_lo_u32 v11, s0, v4
	v_add_nc_u32_e32 v10, v10, v12
	v_mul_hi_u32 v12, v4, v11
	v_mul_lo_u32 v13, v4, v10
	v_mul_hi_u32 v14, v4, v10
	v_mul_hi_u32 v15, v7, v11
	v_mul_lo_u32 v11, v7, v11
	v_mul_hi_u32 v16, v7, v10
	v_mul_lo_u32 v10, v7, v10
	v_add_co_u32 v12, vcc_lo, v12, v13
	v_add_co_ci_u32_e32 v13, vcc_lo, 0, v14, vcc_lo
	v_add_co_u32 v11, vcc_lo, v12, v11
	v_add_co_ci_u32_e32 v11, vcc_lo, v13, v15, vcc_lo
	v_add_co_ci_u32_e32 v12, vcc_lo, 0, v16, vcc_lo
	v_add_co_u32 v10, vcc_lo, v11, v10
	v_add_co_ci_u32_e32 v11, vcc_lo, 0, v12, vcc_lo
	v_add_co_u32 v4, vcc_lo, v4, v10
	v_add_co_ci_u32_e32 v7, vcc_lo, v7, v11, vcc_lo
	v_mul_hi_u32 v16, v5, v4
	v_mad_u64_u32 v[12:13], null, v6, v4, 0
	v_mad_u64_u32 v[10:11], null, v5, v7, 0
	;; [unrolled: 1-line block ×3, first 2 shown]
	v_add_co_u32 v4, vcc_lo, v16, v10
	v_add_co_ci_u32_e32 v7, vcc_lo, 0, v11, vcc_lo
	v_add_co_u32 v4, vcc_lo, v4, v12
	v_add_co_ci_u32_e32 v4, vcc_lo, v7, v13, vcc_lo
	v_add_co_ci_u32_e32 v7, vcc_lo, 0, v15, vcc_lo
	v_add_co_u32 v4, vcc_lo, v4, v14
	v_add_co_ci_u32_e32 v7, vcc_lo, 0, v7, vcc_lo
	v_mul_lo_u32 v12, s25, v4
	v_mad_u64_u32 v[10:11], null, s24, v4, 0
	v_mul_lo_u32 v13, s24, v7
	v_sub_co_u32 v10, vcc_lo, v5, v10
	v_add3_u32 v11, v11, v13, v12
	v_sub_nc_u32_e32 v12, v6, v11
	v_subrev_co_ci_u32_e64 v12, s0, s25, v12, vcc_lo
	v_add_co_u32 v13, s0, v4, 2
	v_add_co_ci_u32_e64 v14, s0, 0, v7, s0
	v_sub_co_u32 v15, s0, v10, s24
	v_sub_co_ci_u32_e32 v11, vcc_lo, v6, v11, vcc_lo
	v_subrev_co_ci_u32_e64 v12, s0, 0, v12, s0
	v_cmp_le_u32_e32 vcc_lo, s24, v15
	v_cmp_eq_u32_e64 s0, s25, v11
	v_cndmask_b32_e64 v15, 0, -1, vcc_lo
	v_cmp_le_u32_e32 vcc_lo, s25, v12
	v_cndmask_b32_e64 v16, 0, -1, vcc_lo
	v_cmp_le_u32_e32 vcc_lo, s24, v10
	;; [unrolled: 2-line block ×3, first 2 shown]
	v_cndmask_b32_e64 v17, 0, -1, vcc_lo
	v_cmp_eq_u32_e32 vcc_lo, s25, v12
	v_cndmask_b32_e64 v10, v17, v10, s0
	v_cndmask_b32_e32 v12, v16, v15, vcc_lo
	v_add_co_u32 v15, vcc_lo, v4, 1
	v_add_co_ci_u32_e32 v16, vcc_lo, 0, v7, vcc_lo
	v_cmp_ne_u32_e32 vcc_lo, 0, v12
	v_cndmask_b32_e32 v11, v16, v14, vcc_lo
	v_cndmask_b32_e32 v12, v15, v13, vcc_lo
	v_cmp_ne_u32_e32 vcc_lo, 0, v10
	v_cndmask_b32_e32 v13, v7, v11, vcc_lo
	v_cndmask_b32_e32 v12, v4, v12, vcc_lo
.LBB0_4:                                ;   in Loop: Header=BB0_2 Depth=1
	s_andn2_saveexec_b32 s0, s1
	s_cbranch_execz .LBB0_6
; %bb.5:                                ;   in Loop: Header=BB0_2 Depth=1
	v_cvt_f32_u32_e32 v4, s24
	s_sub_i32 s1, 0, s24
	v_mov_b32_e32 v13, v3
	v_rcp_iflag_f32_e32 v4, v4
	v_mul_f32_e32 v4, 0x4f7ffffe, v4
	v_cvt_u32_f32_e32 v4, v4
	v_mul_lo_u32 v7, s1, v4
	v_mul_hi_u32 v7, v4, v7
	v_add_nc_u32_e32 v4, v4, v7
	v_mul_hi_u32 v4, v5, v4
	v_mul_lo_u32 v7, v4, s24
	v_add_nc_u32_e32 v10, 1, v4
	v_sub_nc_u32_e32 v7, v5, v7
	v_subrev_nc_u32_e32 v11, s24, v7
	v_cmp_le_u32_e32 vcc_lo, s24, v7
	v_cndmask_b32_e32 v7, v7, v11, vcc_lo
	v_cndmask_b32_e32 v4, v4, v10, vcc_lo
	v_cmp_le_u32_e32 vcc_lo, s24, v7
	v_add_nc_u32_e32 v10, 1, v4
	v_cndmask_b32_e32 v12, v4, v10, vcc_lo
.LBB0_6:                                ;   in Loop: Header=BB0_2 Depth=1
	s_or_b32 exec_lo, exec_lo, s0
	v_mul_lo_u32 v4, v13, s24
	v_mul_lo_u32 v7, v12, s25
	s_load_dwordx2 s[0:1], s[6:7], 0x0
	v_mad_u64_u32 v[10:11], null, v12, s24, 0
	s_load_dwordx2 s[24:25], s[2:3], 0x0
	s_add_u32 s22, s22, 1
	s_addc_u32 s23, s23, 0
	s_add_u32 s2, s2, 8
	s_addc_u32 s3, s3, 0
	s_add_u32 s6, s6, 8
	v_add3_u32 v4, v11, v7, v4
	v_sub_co_u32 v5, vcc_lo, v5, v10
	s_addc_u32 s7, s7, 0
	s_add_u32 s20, s20, 8
	v_sub_co_ci_u32_e32 v4, vcc_lo, v6, v4, vcc_lo
	s_addc_u32 s21, s21, 0
	s_waitcnt lgkmcnt(0)
	v_mul_lo_u32 v6, s0, v4
	v_mul_lo_u32 v7, s1, v5
	v_mad_u64_u32 v[1:2], null, s0, v5, v[1:2]
	v_mul_lo_u32 v4, s24, v4
	v_mul_lo_u32 v10, s25, v5
	v_mad_u64_u32 v[8:9], null, s24, v5, v[8:9]
	v_cmp_ge_u64_e64 s0, s[22:23], s[14:15]
	v_add3_u32 v2, v7, v2, v6
	v_add3_u32 v9, v10, v9, v4
	s_and_b32 vcc_lo, exec_lo, s0
	s_cbranch_vccnz .LBB0_9
; %bb.7:                                ;   in Loop: Header=BB0_2 Depth=1
	v_mov_b32_e32 v5, v12
	v_mov_b32_e32 v6, v13
	s_branch .LBB0_2
.LBB0_8:
	v_mov_b32_e32 v9, v2
	v_mov_b32_e32 v13, v6
	;; [unrolled: 1-line block ×4, first 2 shown]
.LBB0_9:
	s_load_dwordx2 s[0:1], s[4:5], 0x28
	v_mul_hi_u32 v3, 0x4924925, v0
	s_lshl_b64 s[4:5], s[14:15], 3
                                        ; implicit-def: $vgpr10
                                        ; implicit-def: $vgpr14
                                        ; implicit-def: $vgpr20
                                        ; implicit-def: $vgpr19
                                        ; implicit-def: $vgpr18
                                        ; implicit-def: $vgpr17
                                        ; implicit-def: $vgpr16
	s_add_u32 s2, s18, s4
	s_addc_u32 s3, s19, s5
	s_waitcnt lgkmcnt(0)
	v_cmp_gt_u64_e32 vcc_lo, s[0:1], v[12:13]
	v_cmp_le_u64_e64 s0, s[0:1], v[12:13]
	s_and_saveexec_b32 s1, s0
	s_xor_b32 s0, exec_lo, s1
; %bb.10:
	v_mul_u32_u24_e32 v1, 56, v3
                                        ; implicit-def: $vgpr3
	v_sub_nc_u32_e32 v10, v0, v1
                                        ; implicit-def: $vgpr0
                                        ; implicit-def: $vgpr1_vgpr2
	v_add_nc_u32_e32 v14, 56, v10
	v_add_nc_u32_e32 v20, 0x70, v10
	;; [unrolled: 1-line block ×6, first 2 shown]
; %bb.11:
	s_andn2_saveexec_b32 s1, s0
	s_cbranch_execz .LBB0_13
; %bb.12:
	s_add_u32 s4, s16, s4
	s_addc_u32 s5, s17, s5
	v_lshlrev_b64 v[1:2], 2, v[1:2]
	s_load_dwordx2 s[4:5], s[4:5], 0x0
	s_waitcnt lgkmcnt(0)
	v_mul_lo_u32 v6, s5, v12
	v_mul_lo_u32 v7, s4, v13
	v_mad_u64_u32 v[4:5], null, s4, v12, 0
	v_add3_u32 v5, v5, v7, v6
	v_mul_u32_u24_e32 v6, 56, v3
	v_lshlrev_b64 v[3:4], 2, v[4:5]
	v_sub_nc_u32_e32 v10, v0, v6
	v_add_nc_u32_e32 v14, 56, v10
	v_add_co_u32 v0, s0, s8, v3
	v_add_co_ci_u32_e64 v3, s0, s9, v4, s0
	v_lshlrev_b32_e32 v4, 2, v10
	v_add_co_u32 v0, s0, v0, v1
	v_add_co_ci_u32_e64 v1, s0, v3, v2, s0
	v_add_nc_u32_e32 v20, 0x70, v10
	v_add_co_u32 v0, s0, v0, v4
	v_add_co_ci_u32_e64 v1, s0, 0, v1, s0
	v_add_nc_u32_e32 v19, 0xa8, v10
	v_add_co_u32 v2, s0, 0x800, v0
	v_add_co_ci_u32_e64 v3, s0, 0, v1, s0
	s_clause 0xd
	global_load_dword v5, v[0:1], off
	global_load_dword v6, v[0:1], off offset:224
	global_load_dword v7, v[0:1], off offset:448
	;; [unrolled: 1-line block ×13, first 2 shown]
	v_add_nc_u32_e32 v3, 0, v4
	v_add_nc_u32_e32 v18, 0xe0, v10
	;; [unrolled: 1-line block ×7, first 2 shown]
	s_waitcnt vmcnt(12)
	ds_write2_b32 v3, v5, v6 offset1:56
	s_waitcnt vmcnt(10)
	ds_write2_b32 v3, v7, v11 offset0:112 offset1:168
	s_waitcnt vmcnt(8)
	ds_write2_b32 v4, v15, v21 offset0:96 offset1:152
	;; [unrolled: 2-line block ×6, first 2 shown]
.LBB0_13:
	s_or_b32 exec_lo, exec_lo, s1
	v_lshlrev_b32_e32 v11, 2, v10
	s_load_dwordx2 s[2:3], s[2:3], 0x0
	s_waitcnt lgkmcnt(0)
	s_barrier
	buffer_gl0_inv
	v_add_nc_u32_e32 v31, 0, v11
	v_and_b32_e32 v49, 1, v10
	v_lshl_add_u32 v33, v14, 3, 0
	v_lshl_add_u32 v32, v20, 3, 0
	;; [unrolled: 1-line block ×3, first 2 shown]
	v_add_nc_u32_e32 v43, 0x400, v31
	v_add_nc_u32_e32 v42, 0x800, v31
	;; [unrolled: 1-line block ×4, first 2 shown]
	v_lshl_add_u32 v29, v18, 3, 0
	ds_read2_b32 v[0:1], v43 offset0:80 offset1:136
	ds_read2_b32 v[2:3], v42 offset0:160 offset1:216
	ds_read2_b32 v[4:5], v15 offset0:96 offset1:152
	ds_read2_b32 v[6:7], v42 offset0:48 offset1:104
	ds_read2_b32 v[21:22], v31 offset0:112 offset1:168
	ds_read2_b32 v[23:24], v31 offset1:56
	ds_read2_b32 v[25:26], v43 offset0:192 offset1:248
	v_lshl_add_u32 v28, v17, 3, 0
	v_lshl_add_u32 v27, v16, 3, 0
	s_waitcnt lgkmcnt(0)
	s_barrier
	buffer_gl0_inv
	v_lshlrev_b32_e32 v35, 2, v20
	v_lshlrev_b32_e32 v36, 2, v19
	;; [unrolled: 1-line block ×5, first 2 shown]
	v_add_nc_u32_e32 v41, 0x600, v31
	v_sub_nc_u32_e32 v44, v32, v35
	v_sub_nc_u32_e32 v45, v29, v37
	v_and_b32_e32 v58, 3, v10
	v_pk_add_f16 v3, v0, v3 neg_lo:[0,1] neg_hi:[0,1]
	v_pk_add_f16 v2, v5, v2 neg_lo:[0,1] neg_hi:[0,1]
	;; [unrolled: 1-line block ×7, first 2 shown]
	v_pk_fma_f16 v4, v4, 2.0, v7 op_sel_hi:[1,0,1] neg_lo:[0,0,1] neg_hi:[0,0,1]
	v_pk_fma_f16 v22, v22, 2.0, v6 op_sel_hi:[1,0,1] neg_lo:[0,0,1] neg_hi:[0,0,1]
	v_pk_fma_f16 v23, v23, 2.0, v1 op_sel_hi:[1,0,1] neg_lo:[0,0,1] neg_hi:[0,0,1]
	v_pk_fma_f16 v24, v24, 2.0, v25 op_sel_hi:[1,0,1] neg_lo:[0,0,1] neg_hi:[0,0,1]
	v_pk_fma_f16 v21, v21, 2.0, v26 op_sel_hi:[1,0,1] neg_lo:[0,0,1] neg_hi:[0,0,1]
	v_pk_fma_f16 v0, v0, 2.0, v3 op_sel_hi:[1,0,1] neg_lo:[0,0,1] neg_hi:[0,0,1]
	v_pk_fma_f16 v5, v5, 2.0, v2 op_sel_hi:[1,0,1] neg_lo:[0,0,1] neg_hi:[0,0,1]
	ds_write2_b32 v34, v23, v1 offset1:1
	ds_write2_b32 v33, v24, v25 offset1:1
	;; [unrolled: 1-line block ×6, first 2 shown]
	v_lshlrev_b32_e32 v1, 2, v49
	v_lshlrev_b32_e32 v34, 2, v14
	ds_write2_b32 v27, v0, v3 offset1:1
	s_waitcnt lgkmcnt(0)
	s_barrier
	buffer_gl0_inv
	global_load_dword v26, v1, s[12:13]
	v_sub_nc_u32_e32 v0, v30, v36
	v_sub_nc_u32_e32 v40, v33, v34
	;; [unrolled: 1-line block ×4, first 2 shown]
	ds_read2_b32 v[22:23], v41 offset0:120 offset1:176
	ds_read2_b32 v[24:25], v43 offset0:136 offset1:192
	ds_read2_b32 v[47:48], v42 offset0:104 offset1:160
	ds_read_b32 v50, v44
	ds_read_b32 v51, v0
	;; [unrolled: 1-line block ×5, first 2 shown]
	ds_read_b32 v55, v31 offset:2912
	ds_read_b32 v56, v40
	ds_read_b32 v57, v31
	v_lshlrev_b32_e32 v2, 1, v10
	v_lshlrev_b32_e32 v3, 1, v14
	;; [unrolled: 1-line block ×7, first 2 shown]
	v_and_or_b32 v59, 0x7c, v2, v49
	v_and_or_b32 v60, 0xfc, v3, v49
	;; [unrolled: 1-line block ×5, first 2 shown]
	v_lshl_add_u32 v59, v59, 2, 0
	v_lshl_add_u32 v60, v60, 2, 0
	;; [unrolled: 1-line block ×5, first 2 shown]
	s_waitcnt vmcnt(0) lgkmcnt(0)
	s_barrier
	buffer_gl0_inv
	s_add_u32 s1, s12, 0xc38
	s_addc_u32 s4, s13, 0
	s_mov_b32 s5, exec_lo
	v_pk_mul_f16 v65, v26, v24 op_sel:[0,1]
	v_pk_mul_f16 v66, v26, v25 op_sel:[0,1]
	;; [unrolled: 1-line block ×7, first 2 shown]
	v_pk_fma_f16 v71, v26, v24, v65 op_sel:[0,0,1] op_sel_hi:[1,1,0] neg_lo:[0,0,1] neg_hi:[0,0,1]
	v_pk_fma_f16 v24, v26, v24, v65 op_sel:[0,0,1] op_sel_hi:[1,0,0]
	v_pk_fma_f16 v65, v26, v25, v66 op_sel:[0,0,1] op_sel_hi:[1,1,0] neg_lo:[0,0,1] neg_hi:[0,0,1]
	v_pk_fma_f16 v25, v26, v25, v66 op_sel:[0,0,1] op_sel_hi:[1,0,0]
	;; [unrolled: 2-line block ×7, first 2 shown]
	v_bfi_b32 v24, 0xffff, v71, v24
	v_bfi_b32 v25, 0xffff, v65, v25
	;; [unrolled: 1-line block ×7, first 2 shown]
	v_pk_add_f16 v24, v57, v24 neg_lo:[0,1] neg_hi:[0,1]
	v_pk_add_f16 v25, v56, v25 neg_lo:[0,1] neg_hi:[0,1]
	;; [unrolled: 1-line block ×5, first 2 shown]
	v_and_or_b32 v70, 0x2fc, v7, v49
	v_and_or_b32 v49, 0x3fc, v21, v49
	v_lshlrev_b32_e32 v55, 2, v58
	v_pk_add_f16 v48, v53, v48 neg_lo:[0,1] neg_hi:[0,1]
	v_pk_add_f16 v26, v54, v26 neg_lo:[0,1] neg_hi:[0,1]
	v_pk_fma_f16 v57, v57, 2.0, v24 op_sel_hi:[1,0,1] neg_lo:[0,0,1] neg_hi:[0,0,1]
	v_pk_fma_f16 v56, v56, 2.0, v25 op_sel_hi:[1,0,1] neg_lo:[0,0,1] neg_hi:[0,0,1]
	;; [unrolled: 1-line block ×5, first 2 shown]
	v_lshl_add_u32 v68, v70, 2, 0
	v_lshl_add_u32 v49, v49, 2, 0
	v_pk_fma_f16 v53, v53, 2.0, v48 op_sel_hi:[1,0,1] neg_lo:[0,0,1] neg_hi:[0,0,1]
	v_pk_fma_f16 v54, v54, 2.0, v26 op_sel_hi:[1,0,1] neg_lo:[0,0,1] neg_hi:[0,0,1]
	ds_write2_b32 v59, v57, v24 offset1:2
	ds_write2_b32 v60, v56, v25 offset1:2
	;; [unrolled: 1-line block ×7, first 2 shown]
	s_waitcnt lgkmcnt(0)
	s_barrier
	buffer_gl0_inv
	global_load_dword v26, v55, s[12:13] offset:8
	ds_read2_b32 v[22:23], v43 offset0:136 offset1:192
	ds_read2_b32 v[24:25], v41 offset0:120 offset1:176
	;; [unrolled: 1-line block ×3, first 2 shown]
	ds_read_b32 v49, v31 offset:2912
	ds_read_b32 v50, v31
	ds_read_b32 v57, v0
	;; [unrolled: 1-line block ×7, first 2 shown]
	v_and_b32_e32 v51, 7, v10
	v_and_or_b32 v52, 0x78, v2, v58
	v_and_or_b32 v53, 0xf8, v3, v58
	;; [unrolled: 1-line block ×5, first 2 shown]
	v_lshl_add_u32 v52, v52, 2, 0
	v_lshl_add_u32 v53, v53, 2, 0
	;; [unrolled: 1-line block ×5, first 2 shown]
	s_waitcnt vmcnt(0) lgkmcnt(0)
	s_barrier
	buffer_gl0_inv
	v_and_or_b32 v2, 0x70, v2, v51
	v_and_or_b32 v3, 0xf0, v3, v51
	;; [unrolled: 1-line block ×3, first 2 shown]
	v_pk_mul_f16 v64, v26, v22 op_sel:[0,1]
	v_pk_mul_f16 v65, v26, v23 op_sel:[0,1]
	;; [unrolled: 1-line block ×7, first 2 shown]
	v_pk_fma_f16 v71, v26, v22, v64 op_sel:[0,0,1] op_sel_hi:[1,1,0] neg_lo:[0,0,1] neg_hi:[0,0,1]
	v_pk_fma_f16 v22, v26, v22, v64 op_sel:[0,0,1] op_sel_hi:[1,0,0]
	v_pk_fma_f16 v64, v26, v23, v65 op_sel:[0,0,1] op_sel_hi:[1,1,0] neg_lo:[0,0,1] neg_hi:[0,0,1]
	v_pk_fma_f16 v23, v26, v23, v65 op_sel:[0,0,1] op_sel_hi:[1,0,0]
	;; [unrolled: 2-line block ×7, first 2 shown]
	v_bfi_b32 v22, 0xffff, v71, v22
	v_bfi_b32 v23, 0xffff, v64, v23
	;; [unrolled: 1-line block ×7, first 2 shown]
	v_pk_add_f16 v22, v50, v22 neg_lo:[0,1] neg_hi:[0,1]
	v_pk_add_f16 v23, v63, v23 neg_lo:[0,1] neg_hi:[0,1]
	;; [unrolled: 1-line block ×5, first 2 shown]
	v_and_or_b32 v69, 0x2f8, v7, v58
	v_and_or_b32 v58, 0x3f8, v21, v58
	v_lshlrev_b32_e32 v49, 2, v51
	v_pk_add_f16 v48, v60, v48 neg_lo:[0,1] neg_hi:[0,1]
	v_pk_add_f16 v26, v61, v26 neg_lo:[0,1] neg_hi:[0,1]
	v_pk_fma_f16 v50, v50, 2.0, v22 op_sel_hi:[1,0,1] neg_lo:[0,0,1] neg_hi:[0,0,1]
	v_pk_fma_f16 v63, v63, 2.0, v23 op_sel_hi:[1,0,1] neg_lo:[0,0,1] neg_hi:[0,0,1]
	;; [unrolled: 1-line block ×5, first 2 shown]
	v_lshl_add_u32 v69, v69, 2, 0
	v_lshl_add_u32 v58, v58, 2, 0
	v_pk_fma_f16 v60, v60, 2.0, v48 op_sel_hi:[1,0,1] neg_lo:[0,0,1] neg_hi:[0,0,1]
	v_pk_fma_f16 v61, v61, 2.0, v26 op_sel_hi:[1,0,1] neg_lo:[0,0,1] neg_hi:[0,0,1]
	ds_write2_b32 v52, v50, v22 offset1:4
	ds_write2_b32 v53, v63, v23 offset1:4
	ds_write2_b32 v54, v62, v24 offset1:4
	ds_write2_b32 v55, v57, v25 offset1:4
	ds_write2_b32 v56, v59, v47 offset1:4
	ds_write2_b32 v69, v60, v48 offset1:4
	ds_write2_b32 v58, v61, v26 offset1:4
	s_waitcnt lgkmcnt(0)
	s_barrier
	buffer_gl0_inv
	global_load_dword v22, v49, s[12:13] offset:24
	v_and_or_b32 v24, 0x1f0, v5, v51
	v_and_or_b32 v25, 0x3f0, v6, v51
	;; [unrolled: 1-line block ×4, first 2 shown]
	v_lshl_add_u32 v48, v2, 2, 0
	v_lshl_add_u32 v49, v3, 2, 0
	ds_read2_b32 v[2:3], v42 offset0:104 offset1:160
	v_lshl_add_u32 v50, v4, 2, 0
	ds_read2_b32 v[4:5], v41 offset0:120 offset1:176
	ds_read2_b32 v[6:7], v43 offset0:136 offset1:192
	ds_read_b32 v51, v31 offset:2912
	ds_read_b32 v0, v0
	ds_read_b32 v52, v46
	;; [unrolled: 1-line block ×7, first 2 shown]
	v_and_b32_e32 v23, 15, v10
	v_lshl_add_u32 v24, v24, 2, 0
	v_lshl_add_u32 v25, v25, 2, 0
	;; [unrolled: 1-line block ×4, first 2 shown]
	v_mul_u32_u24_e32 v47, 6, v23
	s_waitcnt vmcnt(0) lgkmcnt(0)
	s_barrier
	buffer_gl0_inv
	v_lshlrev_b32_e32 v47, 2, v47
	v_pk_mul_f16 v57, v22, v3 op_sel:[0,1]
	v_pk_mul_f16 v58, v22, v2 op_sel:[0,1]
	;; [unrolled: 1-line block ×7, first 2 shown]
	v_pk_fma_f16 v64, v22, v3, v57 op_sel:[0,0,1] op_sel_hi:[1,1,0] neg_lo:[0,0,1] neg_hi:[0,0,1]
	v_pk_fma_f16 v3, v22, v3, v57 op_sel:[0,0,1] op_sel_hi:[1,0,0]
	v_pk_fma_f16 v57, v22, v2, v58 op_sel:[0,0,1] op_sel_hi:[1,1,0] neg_lo:[0,0,1] neg_hi:[0,0,1]
	v_pk_fma_f16 v2, v22, v2, v58 op_sel:[0,0,1] op_sel_hi:[1,0,0]
	;; [unrolled: 2-line block ×7, first 2 shown]
	v_bfi_b32 v22, 0xffff, v60, v51
	v_bfi_b32 v4, 0xffff, v59, v4
	;; [unrolled: 1-line block ×7, first 2 shown]
	v_pk_add_f16 v22, v52, v22 neg_lo:[0,1] neg_hi:[0,1]
	v_pk_add_f16 v7, v55, v7 neg_lo:[0,1] neg_hi:[0,1]
	;; [unrolled: 1-line block ×7, first 2 shown]
	v_pk_fma_f16 v51, v52, 2.0, v22 op_sel_hi:[1,0,1] neg_lo:[0,0,1] neg_hi:[0,0,1]
	v_pk_fma_f16 v52, v56, 2.0, v6 op_sel_hi:[1,0,1] neg_lo:[0,0,1] neg_hi:[0,0,1]
	;; [unrolled: 1-line block ×7, first 2 shown]
	ds_write2_b32 v48, v52, v6 offset1:8
	ds_write2_b32 v49, v55, v7 offset1:8
	;; [unrolled: 1-line block ×7, first 2 shown]
	s_waitcnt lgkmcnt(0)
	s_barrier
	buffer_gl0_inv
	global_load_dwordx4 v[4:7], v47, s[12:13] offset:56
	v_and_b32_e32 v24, 15, v14
	v_lshrrev_b32_e32 v51, 4, v14
	v_lshrrev_b32_e32 v53, 4, v10
	v_mul_u32_u24_e32 v58, 6, v10
	v_mul_u32_u24_e32 v0, 6, v24
	v_mul_lo_u32 v54, 0x70, v51
	v_mul_u32_u24_e32 v53, 0x70, v53
	v_lshlrev_b32_e32 v58, 2, v58
	v_lshlrev_b32_e32 v25, 2, v0
	s_clause 0x2
	global_load_dwordx4 v[0:3], v25, s[12:13] offset:56
	global_load_dwordx2 v[21:22], v47, s[12:13] offset:72
	global_load_dwordx2 v[25:26], v25, s[12:13] offset:72
	ds_read_b32 v55, v44
	ds_read_b32 v56, v45
	;; [unrolled: 1-line block ×3, first 2 shown]
	ds_read2_b32 v[47:48], v43 offset0:192 offset1:248
	ds_read2_b32 v[49:50], v43 offset0:24 offset1:136
	ds_read2_b32 v[51:52], v31 offset1:168
	v_or_b32_e32 v59, v53, v23
	v_or_b32_e32 v60, v54, v24
	ds_read_b32 v61, v40
	ds_read2_b32 v[23:24], v42 offset0:48 offset1:104
	ds_read2_b32 v[53:54], v42 offset0:160 offset1:216
	s_waitcnt vmcnt(0) lgkmcnt(0)
	s_barrier
	v_lshl_add_u32 v59, v59, 2, 0
	v_lshl_add_u32 v60, v60, 2, 0
	buffer_gl0_inv
	v_lshrrev_b32_e32 v62, 16, v55
	v_lshrrev_b32_e32 v63, 16, v56
	;; [unrolled: 1-line block ×8, first 2 shown]
	v_mul_f16_sdwa v68, v4, v62 dst_sel:DWORD dst_unused:UNUSED_PAD src0_sel:WORD_1 src1_sel:DWORD
	v_mul_f16_sdwa v70, v4, v55 dst_sel:DWORD dst_unused:UNUSED_PAD src0_sel:WORD_1 src1_sel:DWORD
	;; [unrolled: 1-line block ×3, first 2 shown]
	v_fma_f16 v55, v4, v55, -v68
	v_mul_f16_sdwa v68, v5, v56 dst_sel:DWORD dst_unused:UNUSED_PAD src0_sel:WORD_1 src1_sel:DWORD
	v_fmac_f16_e32 v70, v4, v62
	v_mul_f16_sdwa v4, v6, v64 dst_sel:DWORD dst_unused:UNUSED_PAD src0_sel:WORD_1 src1_sel:DWORD
	v_fma_f16 v56, v5, v56, -v72
	v_mul_f16_sdwa v62, v6, v57 dst_sel:DWORD dst_unused:UNUSED_PAD src0_sel:WORD_1 src1_sel:DWORD
	v_fmac_f16_e32 v68, v5, v63
	v_mul_f16_sdwa v5, v7, v47 dst_sel:DWORD dst_unused:UNUSED_PAD src0_sel:WORD_1 src1_sel:DWORD
	v_fma_f16 v4, v6, v57, -v4
	v_mul_f16_sdwa v57, v7, v65 dst_sel:DWORD dst_unused:UNUSED_PAD src0_sel:WORD_1 src1_sel:DWORD
	v_fmac_f16_e32 v62, v6, v64
	v_mul_f16_sdwa v63, v66, v1 dst_sel:DWORD dst_unused:UNUSED_PAD src0_sel:DWORD src1_sel:WORD_1
	v_fmac_f16_e32 v5, v7, v65
	v_mul_f16_sdwa v64, v49, v1 dst_sel:DWORD dst_unused:UNUSED_PAD src0_sel:DWORD src1_sel:WORD_1
	v_fma_f16 v7, v7, v47, -v57
	v_mul_f16_sdwa v47, v67, v2 dst_sel:DWORD dst_unused:UNUSED_PAD src0_sel:DWORD src1_sel:WORD_1
	v_mul_f16_sdwa v65, v69, v3 dst_sel:DWORD dst_unused:UNUSED_PAD src0_sel:DWORD src1_sel:WORD_1
	v_lshrrev_b32_e32 v6, 16, v23
	v_fma_f16 v49, v49, v1, -v63
	v_fmac_f16_e32 v64, v66, v1
	v_fma_f16 v47, v50, v2, -v47
	v_mul_f16_sdwa v50, v50, v2 dst_sel:DWORD dst_unused:UNUSED_PAD src0_sel:DWORD src1_sel:WORD_1
	v_fma_f16 v65, v48, v3, -v65
	v_mul_f16_sdwa v48, v48, v3 dst_sel:DWORD dst_unused:UNUSED_PAD src0_sel:DWORD src1_sel:WORD_1
	v_mul_f16_sdwa v1, v52, v0 dst_sel:DWORD dst_unused:UNUSED_PAD src0_sel:DWORD src1_sel:WORD_1
	v_lshrrev_b32_e32 v57, 16, v53
	v_fmac_f16_e32 v50, v67, v2
	v_mul_f16_sdwa v2, v71, v0 dst_sel:DWORD dst_unused:UNUSED_PAD src0_sel:DWORD src1_sel:WORD_1
	v_lshrrev_b32_e32 v63, 16, v24
	v_lshrrev_b32_e32 v72, 16, v54
	v_fmac_f16_e32 v48, v69, v3
	v_mul_f16_sdwa v3, v21, v23 dst_sel:DWORD dst_unused:UNUSED_PAD src0_sel:WORD_1 src1_sel:DWORD
	v_fmac_f16_e32 v1, v71, v0
	v_mul_f16_sdwa v66, v21, v6 dst_sel:DWORD dst_unused:UNUSED_PAD src0_sel:WORD_1 src1_sel:DWORD
	v_fma_f16 v0, v52, v0, -v2
	v_mul_f16_sdwa v2, v53, v22 dst_sel:DWORD dst_unused:UNUSED_PAD src0_sel:DWORD src1_sel:WORD_1
	v_mul_f16_sdwa v52, v57, v22 dst_sel:DWORD dst_unused:UNUSED_PAD src0_sel:DWORD src1_sel:WORD_1
	;; [unrolled: 1-line block ×3, first 2 shown]
	v_fmac_f16_e32 v3, v21, v6
	v_mul_f16_sdwa v6, v72, v26 dst_sel:DWORD dst_unused:UNUSED_PAD src0_sel:DWORD src1_sel:WORD_1
	v_fmac_f16_e32 v2, v57, v22
	v_mul_f16_sdwa v57, v54, v26 dst_sel:DWORD dst_unused:UNUSED_PAD src0_sel:DWORD src1_sel:WORD_1
	v_fma_f16 v21, v21, v23, -v66
	v_fma_f16 v22, v53, v22, -v52
	;; [unrolled: 1-line block ×4, first 2 shown]
	v_fmac_f16_e32 v57, v72, v26
	v_add_f16_e32 v26, v56, v21
	v_sub_f16_e32 v21, v56, v21
	v_add_f16_e32 v53, v4, v7
	v_sub_f16_e32 v4, v7, v4
	v_mul_f16_sdwa v69, v24, v25 dst_sel:DWORD dst_unused:UNUSED_PAD src0_sel:DWORD src1_sel:WORD_1
	v_add_f16_e32 v24, v55, v22
	v_sub_f16_e32 v22, v55, v22
	v_add_f16_e32 v52, v68, v3
	v_sub_f16_e32 v3, v68, v3
	;; [unrolled: 2-line block ×7, first 2 shown]
	v_add_f16_e32 v66, v4, v21
	v_fmac_f16_e32 v69, v63, v25
	v_add_f16_e32 v25, v70, v2
	v_sub_f16_e32 v2, v70, v2
	v_add_f16_e32 v62, v50, v48
	v_sub_f16_e32 v48, v48, v50
	;; [unrolled: 2-line block ×3, first 2 shown]
	v_sub_f16_e32 v24, v24, v53
	v_sub_f16_e32 v26, v53, v26
	;; [unrolled: 1-line block ×5, first 2 shown]
	v_add_f16_e32 v68, v5, v3
	v_add_f16_e32 v66, v66, v22
	;; [unrolled: 1-line block ×4, first 2 shown]
	v_sub_f16_e32 v56, v64, v69
	v_add_f16_e32 v64, v52, v25
	v_sub_f16_e32 v65, v52, v25
	v_sub_f16_e32 v25, v25, v7
	;; [unrolled: 1-line block ×6, first 2 shown]
	v_add_f16_e32 v2, v68, v2
	v_sub_f16_e32 v68, v47, v23
	v_sub_f16_e32 v47, v0, v47
	;; [unrolled: 1-line block ×3, first 2 shown]
	v_add_f16_e32 v0, v22, v0
	v_mul_f16_e32 v22, 0x3a52, v24
	v_mul_f16_e32 v24, 0x2b26, v26
	v_add_f16_e32 v70, v55, v54
	v_sub_f16_e32 v71, v55, v54
	v_sub_f16_e32 v54, v54, v57
	;; [unrolled: 1-line block ×3, first 2 shown]
	v_add_f16_e32 v50, v53, v50
	v_add_f16_e32 v53, v49, v6
	;; [unrolled: 1-line block ×3, first 2 shown]
	v_sub_f16_e32 v64, v49, v6
	v_sub_f16_e32 v49, v62, v49
	v_mul_f16_e32 v25, 0x3a52, v25
	v_mul_f16_e32 v72, 0x2b26, v52
	;; [unrolled: 1-line block ×3, first 2 shown]
	v_fmamk_f16 v26, v26, 0x2b26, v22
	v_fma_f16 v24, v63, 0x39e0, -v24
	v_fma_f16 v63, v63, 0xb9e0, -v22
	v_mul_f16_e32 v22, 0x3b00, v21
	v_sub_f16_e32 v6, v6, v62
	v_add_f16_e32 v57, v57, v70
	v_add_f16_e32 v70, v48, v56
	;; [unrolled: 1-line block ×3, first 2 shown]
	v_sub_f16_e32 v62, v48, v56
	v_sub_f16_e32 v56, v56, v1
	v_mul_f16_e32 v69, 0xb846, v69
	v_fmamk_f16 v52, v52, 0x2b26, v25
	v_fma_f16 v72, v65, 0x39e0, -v72
	v_fma_f16 v25, v65, 0xb9e0, -v25
	v_mul_f16_e32 v65, 0x3b00, v3
	v_mul_f16_e32 v54, 0x3a52, v54
	v_fma_f16 v73, v21, 0x3b00, -v67
	v_fmamk_f16 v67, v4, 0x3574, v67
	v_fma_f16 v4, v4, 0xb574, -v22
	v_mul_f16_e32 v21, 0x2b26, v55
	v_mul_f16_e32 v22, 0x2b26, v49
	v_sub_f16_e32 v48, v1, v48
	v_mul_f16_e32 v6, 0x3a52, v6
	v_fma_f16 v3, v3, 0x3b00, -v69
	v_fmamk_f16 v69, v5, 0x3574, v69
	v_fma_f16 v5, v5, 0xb574, -v65
	v_mul_f16_e32 v65, 0xb846, v68
	v_fmamk_f16 v55, v55, 0x2b26, v54
	v_fma_f16 v68, v71, 0x39e0, -v21
	v_fma_f16 v54, v71, 0xb9e0, -v54
	v_mul_f16_e32 v21, 0x3b00, v23
	v_mul_f16_e32 v62, 0xb846, v62
	v_fma_f16 v71, v64, 0x39e0, -v22
	v_mul_f16_e32 v22, 0x3b00, v56
	v_add_f16_e32 v1, v70, v1
	v_add_f16_e32 v70, v50, v51
	v_add_f16_sdwa v51, v7, v51 dst_sel:DWORD dst_unused:UNUSED_PAD src0_sel:DWORD src1_sel:WORD_1
	v_fmamk_f16 v49, v49, 0x2b26, v6
	v_fma_f16 v6, v64, 0xb9e0, -v6
	v_fma_f16 v23, v23, 0x3b00, -v65
	v_fmamk_f16 v64, v47, 0x3574, v65
	v_fma_f16 v47, v47, 0xb574, -v21
	v_fma_f16 v56, v56, 0x3b00, -v62
	v_fmamk_f16 v62, v48, 0x3574, v62
	v_fma_f16 v48, v48, 0xb574, -v22
	v_add_f16_e32 v65, v57, v61
	v_add_f16_sdwa v61, v53, v61 dst_sel:DWORD dst_unused:UNUSED_PAD src0_sel:DWORD src1_sel:WORD_1
	v_fmac_f16_e32 v64, 0x370e, v0
	v_fmac_f16_e32 v23, 0x370e, v0
	;; [unrolled: 1-line block ×6, first 2 shown]
	v_fmamk_f16 v0, v50, 0xbcab, v70
	v_fmamk_f16 v1, v7, 0xbcab, v51
	;; [unrolled: 1-line block ×4, first 2 shown]
	v_fmac_f16_e32 v67, 0x370e, v66
	v_fmac_f16_e32 v4, 0x370e, v66
	;; [unrolled: 1-line block ×4, first 2 shown]
	v_add_f16_e32 v26, v26, v0
	v_add_f16_e32 v24, v24, v0
	v_add_f16_e32 v0, v63, v0
	v_add_f16_e32 v52, v52, v1
	v_add_f16_e32 v53, v72, v1
	v_add_f16_e32 v1, v25, v1
	v_fmac_f16_e32 v73, 0x370e, v66
	v_fmac_f16_e32 v3, 0x370e, v2
	v_add_f16_e32 v25, v55, v7
	v_add_f16_e32 v55, v68, v7
	;; [unrolled: 1-line block ×6, first 2 shown]
	v_pack_b32_f16 v2, v70, v51
	v_pack_b32_f16 v51, v65, v61
	v_add_f16_e32 v57, v5, v0
	v_sub_f16_e32 v0, v0, v5
	v_sub_f16_e32 v5, v1, v4
	v_add_f16_e32 v1, v4, v1
	v_add_f16_e32 v4, v69, v26
	v_sub_f16_e32 v61, v52, v67
	v_sub_f16_e32 v50, v24, v3
	v_add_f16_e32 v3, v3, v24
	v_add_f16_e32 v24, v73, v53
	v_sub_f16_e32 v53, v53, v73
	v_sub_f16_e32 v26, v26, v69
	v_add_f16_e32 v52, v67, v52
	v_sub_f16_e32 v63, v55, v56
	v_add_f16_e32 v55, v56, v55
	v_add_f16_e32 v56, v23, v54
	v_sub_f16_e32 v23, v54, v23
	v_add_f16_e32 v54, v48, v7
	v_sub_f16_e32 v7, v7, v48
	v_sub_f16_e32 v48, v6, v47
	v_add_f16_e32 v6, v47, v6
	v_add_f16_e32 v47, v62, v25
	v_sub_f16_e32 v25, v25, v62
	v_sub_f16_e32 v62, v49, v64
	v_add_f16_e32 v49, v64, v49
	v_pack_b32_f16 v4, v4, v61
	v_pack_b32_f16 v5, v57, v5
	;; [unrolled: 1-line block ×6, first 2 shown]
	v_mul_i32_i24_e32 v21, 6, v14
	v_mov_b32_e32 v22, 0
	v_pack_b32_f16 v26, v47, v62
	v_pack_b32_f16 v6, v7, v6
	;; [unrolled: 1-line block ×6, first 2 shown]
	ds_write2_b32 v59, v2, v4 offset1:16
	ds_write2_b32 v59, v5, v24 offset0:32 offset1:48
	ds_write2_b32 v59, v3, v0 offset0:64 offset1:80
	ds_write_b32 v59, v1 offset:384
	ds_write2_b32 v60, v51, v26 offset1:16
	ds_write2_b32 v60, v47, v48 offset0:32 offset1:48
	ds_write2_b32 v60, v23, v6 offset0:64 offset1:80
	ds_write_b32 v60, v7 offset:384
	s_waitcnt lgkmcnt(0)
	s_barrier
	buffer_gl0_inv
	global_load_dwordx4 v[4:7], v58, s[12:13] offset:440
	v_lshlrev_b64 v[0:1], 2, v[21:22]
	v_add_nc_u32_e32 v54, 0x200, v40
	v_add_nc_u32_e32 v55, 0x600, v40
	v_add_co_u32 v23, s0, s12, v0
	v_add_co_ci_u32_e64 v24, s0, s13, v1, s0
	s_clause 0x2
	global_load_dwordx4 v[0:3], v[23:24], off offset:440
	global_load_dwordx2 v[25:26], v58, s[12:13] offset:456
	global_load_dwordx2 v[23:24], v[23:24], off offset:456
	ds_read_b32 v21, v44
	ds_read_b32 v52, v45
	ds_read_b32 v53, v46
	ds_read2_b32 v[44:45], v43 offset0:192 offset1:248
	ds_read2_b32 v[46:47], v43 offset0:24 offset1:136
	ds_read2_b32 v[48:49], v31 offset1:168
	ds_read2_b32 v[50:51], v42 offset0:48 offset1:104
	ds_read2_b32 v[42:43], v42 offset0:160 offset1:216
	ds_read_b32 v56, v40
	s_waitcnt vmcnt(0) lgkmcnt(0)
	s_barrier
	buffer_gl0_inv
	v_lshrrev_b32_e32 v57, 16, v21
	v_lshrrev_b32_e32 v58, 16, v52
	;; [unrolled: 1-line block ×12, first 2 shown]
	v_mul_f16_sdwa v67, v4, v57 dst_sel:DWORD dst_unused:UNUSED_PAD src0_sel:WORD_1 src1_sel:DWORD
	v_mul_f16_sdwa v69, v4, v21 dst_sel:DWORD dst_unused:UNUSED_PAD src0_sel:WORD_1 src1_sel:DWORD
	;; [unrolled: 1-line block ×3, first 2 shown]
	v_fma_f16 v21, v4, v21, -v67
	v_mul_f16_sdwa v67, v5, v52 dst_sel:DWORD dst_unused:UNUSED_PAD src0_sel:WORD_1 src1_sel:DWORD
	v_fmac_f16_e32 v69, v4, v57
	v_mul_f16_sdwa v4, v6, v59 dst_sel:DWORD dst_unused:UNUSED_PAD src0_sel:WORD_1 src1_sel:DWORD
	v_fma_f16 v52, v5, v52, -v71
	v_mul_f16_sdwa v57, v6, v53 dst_sel:DWORD dst_unused:UNUSED_PAD src0_sel:WORD_1 src1_sel:DWORD
	v_fmac_f16_e32 v67, v5, v58
	v_mul_f16_sdwa v5, v7, v44 dst_sel:DWORD dst_unused:UNUSED_PAD src0_sel:WORD_1 src1_sel:DWORD
	v_fma_f16 v4, v6, v53, -v4
	v_mul_f16_sdwa v53, v7, v60 dst_sel:DWORD dst_unused:UNUSED_PAD src0_sel:WORD_1 src1_sel:DWORD
	v_fmac_f16_e32 v57, v6, v59
	v_mul_f16_sdwa v6, v61, v1 dst_sel:DWORD dst_unused:UNUSED_PAD src0_sel:DWORD src1_sel:WORD_1
	v_fmac_f16_e32 v5, v7, v60
	v_mul_f16_sdwa v58, v62, v2 dst_sel:DWORD dst_unused:UNUSED_PAD src0_sel:DWORD src1_sel:WORD_1
	v_fma_f16 v7, v7, v44, -v53
	v_mul_f16_sdwa v53, v47, v2 dst_sel:DWORD dst_unused:UNUSED_PAD src0_sel:DWORD src1_sel:WORD_1
	v_mul_f16_sdwa v59, v63, v3 dst_sel:DWORD dst_unused:UNUSED_PAD src0_sel:DWORD src1_sel:WORD_1
	;; [unrolled: 1-line block ×4, first 2 shown]
	v_fma_f16 v6, v46, v1, -v6
	v_fma_f16 v46, v47, v2, -v58
	v_mul_f16_sdwa v47, v49, v0 dst_sel:DWORD dst_unused:UNUSED_PAD src0_sel:DWORD src1_sel:WORD_1
	v_mul_f16_sdwa v58, v64, v0 dst_sel:DWORD dst_unused:UNUSED_PAD src0_sel:DWORD src1_sel:WORD_1
	v_fma_f16 v45, v45, v3, -v59
	v_mul_f16_sdwa v59, v25, v50 dst_sel:DWORD dst_unused:UNUSED_PAD src0_sel:WORD_1 src1_sel:DWORD
	v_mul_f16_sdwa v71, v25, v65 dst_sel:DWORD dst_unused:UNUSED_PAD src0_sel:WORD_1 src1_sel:DWORD
	v_fmac_f16_e32 v53, v62, v2
	v_mul_f16_sdwa v2, v66, v26 dst_sel:DWORD dst_unused:UNUSED_PAD src0_sel:DWORD src1_sel:WORD_1
	v_fmac_f16_e32 v44, v61, v1
	v_mul_f16_sdwa v1, v42, v26 dst_sel:DWORD dst_unused:UNUSED_PAD src0_sel:DWORD src1_sel:WORD_1
	;; [unrolled: 2-line block ×4, first 2 shown]
	v_fma_f16 v0, v49, v0, -v58
	v_mul_f16_sdwa v49, v70, v24 dst_sel:DWORD dst_unused:UNUSED_PAD src0_sel:DWORD src1_sel:WORD_1
	v_mul_f16_sdwa v58, v43, v24 dst_sel:DWORD dst_unused:UNUSED_PAD src0_sel:DWORD src1_sel:WORD_1
	v_fmac_f16_e32 v59, v25, v65
	v_fma_f16 v25, v25, v50, -v71
	v_fma_f16 v2, v42, v26, -v2
	v_fmac_f16_e32 v1, v66, v26
	v_fma_f16 v3, v51, v23, -v3
	v_fma_f16 v26, v43, v24, -v49
	v_fmac_f16_e32 v61, v68, v23
	v_fmac_f16_e32 v58, v70, v24
	v_add_f16_e32 v23, v21, v2
	v_add_f16_e32 v24, v52, v25
	v_sub_f16_e32 v2, v21, v2
	v_add_f16_e32 v21, v69, v1
	v_sub_f16_e32 v25, v52, v25
	v_add_f16_e32 v42, v67, v59
	v_add_f16_e32 v49, v4, v7
	v_sub_f16_e32 v4, v7, v4
	v_add_f16_e32 v7, v57, v5
	v_sub_f16_e32 v5, v5, v57
	;; [unrolled: 2-line block ×7, first 2 shown]
	v_sub_f16_e32 v43, v67, v59
	v_add_f16_e32 v50, v0, v26
	v_sub_f16_e32 v0, v0, v26
	v_add_f16_e32 v26, v47, v58
	v_sub_f16_e32 v47, v47, v58
	v_sub_f16_e32 v58, v24, v23
	;; [unrolled: 1-line block ×4, first 2 shown]
	v_add_f16_e32 v59, v42, v21
	v_add_f16_e32 v49, v49, v57
	;; [unrolled: 1-line block ×3, first 2 shown]
	v_sub_f16_e32 v60, v42, v21
	v_sub_f16_e32 v21, v21, v7
	;; [unrolled: 1-line block ×3, first 2 shown]
	v_add_f16_e32 v61, v4, v25
	v_sub_f16_e32 v62, v4, v25
	v_sub_f16_e32 v25, v25, v2
	v_add_f16_e32 v63, v5, v43
	v_sub_f16_e32 v64, v5, v43
	v_sub_f16_e32 v43, v43, v1
	;; [unrolled: 3-line block ×3, first 2 shown]
	v_sub_f16_e32 v51, v52, v51
	v_add_f16_e32 v67, v6, v26
	v_add_f16_e32 v69, v45, v3
	v_sub_f16_e32 v70, v45, v3
	v_sub_f16_e32 v3, v3, v0
	v_add_f16_e32 v7, v7, v59
	v_sub_f16_e32 v59, v53, v44
	v_sub_f16_e32 v53, v47, v53
	;; [unrolled: 1-line block ×3, first 2 shown]
	v_add_f16_e32 v47, v57, v47
	v_mul_f16_e32 v23, 0x3a52, v23
	v_mul_f16_e32 v57, 0x2b26, v24
	v_sub_f16_e32 v4, v2, v4
	v_sub_f16_e32 v5, v1, v5
	;; [unrolled: 1-line block ×6, first 2 shown]
	v_add_f16_e32 v1, v63, v1
	v_add_f16_e32 v52, v52, v65
	;; [unrolled: 1-line block ×3, first 2 shown]
	v_mul_f16_e32 v62, 0xb846, v62
	v_mul_f16_e32 v63, 0x3b00, v25
	;; [unrolled: 1-line block ×7, first 2 shown]
	v_fmamk_f16 v24, v24, 0x2b26, v23
	v_fma_f16 v57, v58, 0x39e0, -v57
	v_fma_f16 v23, v58, 0xb9e0, -v23
	v_mul_f16_e32 v58, 0x3b00, v3
	v_add_f16_e32 v2, v61, v2
	v_mul_f16_e32 v21, 0x3a52, v21
	v_mul_f16_e32 v61, 0x2b26, v42
	;; [unrolled: 1-line block ×3, first 2 shown]
	v_add_f16_e32 v0, v69, v0
	v_add_f16_e32 v69, v49, v48
	v_add_f16_sdwa v48, v7, v48 dst_sel:DWORD dst_unused:UNUSED_PAD src0_sel:DWORD src1_sel:WORD_1
	v_fma_f16 v25, v25, 0x3b00, -v62
	v_fmamk_f16 v62, v4, 0x3574, v62
	v_fma_f16 v4, v4, 0xb574, -v63
	v_fma_f16 v43, v43, 0x3b00, -v64
	v_fmamk_f16 v63, v5, 0x3574, v64
	v_fma_f16 v5, v5, 0xb574, -v65
	v_fmamk_f16 v51, v51, 0x2b26, v50
	v_fma_f16 v64, v66, 0x39e0, -v67
	v_fma_f16 v50, v66, 0xb9e0, -v50
	;; [unrolled: 1-line block ×3, first 2 shown]
	v_fmamk_f16 v66, v45, 0x3574, v70
	v_fma_f16 v45, v45, 0xb574, -v58
	v_mul_f16_e32 v26, 0x3a52, v26
	v_mul_f16_e32 v71, 0x2b26, v6
	v_fmamk_f16 v42, v42, 0x2b26, v21
	v_fma_f16 v61, v60, 0x39e0, -v61
	v_fma_f16 v21, v60, 0xb9e0, -v21
	v_mul_f16_e32 v60, 0x3b00, v44
	v_fma_f16 v44, v44, 0x3b00, -v59
	v_fmamk_f16 v58, v53, 0x3574, v59
	v_add_f16_e32 v59, v52, v56
	v_add_f16_sdwa v56, v46, v56 dst_sel:DWORD dst_unused:UNUSED_PAD src0_sel:DWORD src1_sel:WORD_1
	v_fmac_f16_e32 v63, 0x370e, v1
	v_fmac_f16_e32 v43, 0x370e, v1
	;; [unrolled: 1-line block ×6, first 2 shown]
	v_fmamk_f16 v0, v49, 0xbcab, v69
	v_fmamk_f16 v1, v7, 0xbcab, v48
	v_fmamk_f16 v6, v6, 0x2b26, v26
	v_fma_f16 v65, v68, 0x39e0, -v71
	v_fma_f16 v26, v68, 0xb9e0, -v26
	;; [unrolled: 1-line block ×3, first 2 shown]
	v_fmamk_f16 v7, v52, 0xbcab, v59
	v_fmamk_f16 v46, v46, 0xbcab, v56
	v_fmac_f16_e32 v62, 0x370e, v2
	v_fmac_f16_e32 v25, 0x370e, v2
	v_fmac_f16_e32 v4, 0x370e, v2
	v_pack_b32_f16 v2, v69, v48
	v_add_f16_e32 v24, v24, v0
	v_add_f16_e32 v48, v57, v0
	;; [unrolled: 1-line block ×6, first 2 shown]
	v_fmac_f16_e32 v58, 0x370e, v47
	v_fmac_f16_e32 v44, 0x370e, v47
	;; [unrolled: 1-line block ×3, first 2 shown]
	v_add_f16_e32 v21, v51, v7
	v_add_f16_e32 v49, v64, v7
	;; [unrolled: 1-line block ×6, first 2 shown]
	v_sub_f16_e32 v46, v48, v43
	v_add_f16_e32 v43, v43, v48
	v_add_f16_e32 v48, v25, v42
	v_sub_f16_e32 v25, v42, v25
	v_add_f16_e32 v42, v5, v0
	v_sub_f16_e32 v0, v0, v5
	v_sub_f16_e32 v5, v1, v4
	v_add_f16_e32 v1, v4, v1
	v_add_f16_e32 v4, v63, v24
	v_sub_f16_e32 v51, v23, v62
	v_sub_f16_e32 v24, v24, v63
	v_add_f16_e32 v23, v62, v23
	v_pack_b32_f16 v47, v59, v56
	v_sub_f16_e32 v52, v49, v44
	v_add_f16_e32 v44, v44, v49
	v_add_f16_e32 v49, v3, v50
	v_sub_f16_e32 v3, v50, v3
	v_add_f16_e32 v50, v53, v7
	v_sub_f16_e32 v7, v7, v53
	v_sub_f16_e32 v53, v26, v45
	v_add_f16_e32 v26, v45, v26
	v_add_f16_e32 v45, v58, v21
	v_sub_f16_e32 v56, v6, v66
	v_sub_f16_e32 v21, v21, v58
	v_add_f16_e32 v6, v66, v6
	v_pack_b32_f16 v4, v4, v51
	v_pack_b32_f16 v5, v42, v5
	v_pack_b32_f16 v42, v46, v48
	v_pack_b32_f16 v25, v43, v25
	v_pack_b32_f16 v0, v0, v1
	v_pack_b32_f16 v1, v24, v23
	v_pack_b32_f16 v23, v45, v56
	v_pack_b32_f16 v24, v50, v53
	v_pack_b32_f16 v43, v52, v49
	v_pack_b32_f16 v3, v44, v3
	v_pack_b32_f16 v7, v7, v26
	v_pack_b32_f16 v6, v21, v6
	ds_write2_b32 v31, v2, v4 offset1:112
	ds_write2_b32 v15, v5, v42 offset0:96 offset1:208
	ds_write2_b32 v41, v25, v0 offset0:64 offset1:176
	ds_write_b32 v31, v1 offset:2688
	ds_write2_b32 v40, v47, v23 offset1:112
	ds_write2_b32 v54, v24, v43 offset0:96 offset1:208
	ds_write2_b32 v55, v3, v7 offset0:64 offset1:176
	ds_write_b32 v40, v6 offset:2688
	s_waitcnt lgkmcnt(0)
	s_barrier
	buffer_gl0_inv
	ds_read_b32 v15, v31
	v_sub_nc_u32_e32 v0, 0, v11
                                        ; implicit-def: $vgpr11
                                        ; implicit-def: $vgpr6
                                        ; implicit-def: $vgpr7
	v_cmpx_ne_u32_e32 0, v10
	s_xor_b32 s5, exec_lo, s5
	s_cbranch_execz .LBB0_15
; %bb.14:
	v_mov_b32_e32 v11, v22
	v_lshlrev_b64 v[1:2], 2, v[10:11]
	v_add_co_u32 v1, s0, s1, v1
	v_add_co_ci_u32_e64 v2, s0, s4, v2, s0
	global_load_dword v1, v[1:2], off
	ds_read_b32 v2, v0 offset:3136
	s_waitcnt lgkmcnt(0)
	v_pk_add_f16 v3, v15, v2 neg_lo:[0,1] neg_hi:[0,1]
	v_pk_add_f16 v2, v2, v15
                                        ; implicit-def: $vgpr15
	v_bfi_b32 v4, 0xffff, v3, v2
	v_bfi_b32 v2, 0xffff, v2, v3
	v_pk_mul_f16 v4, v4, 0.5 op_sel_hi:[1,0]
	v_pk_mul_f16 v5, v2, 0.5 op_sel_hi:[1,0]
	s_waitcnt vmcnt(0)
	v_pk_mul_f16 v3, v1, v4 op_sel:[1,0]
	v_pk_mul_f16 v1, v1, v4 op_sel_hi:[0,1]
	v_pk_fma_f16 v2, v2, 0.5, v3 op_sel_hi:[1,0,1]
	v_sub_f16_e32 v4, v5, v3
	v_sub_f16_sdwa v3, v3, v5 dst_sel:DWORD dst_unused:UNUSED_PAD src0_sel:WORD_1 src1_sel:WORD_1
	v_pk_add_f16 v7, v2, v1 op_sel:[0,1] op_sel_hi:[1,0]
	v_pk_add_f16 v2, v2, v1 op_sel:[0,1] op_sel_hi:[1,0] neg_lo:[0,1] neg_hi:[0,1]
	v_sub_f16_sdwa v6, v4, v1 dst_sel:DWORD dst_unused:UNUSED_PAD src0_sel:DWORD src1_sel:WORD_1
	v_bfi_b32 v11, 0xffff, v7, v2
	v_sub_f16_e32 v7, v3, v1
.LBB0_15:
	s_or_saveexec_b32 s0, s5
	v_sub_nc_u32_e32 v22, 0, v34
	v_sub_nc_u32_e32 v5, 0, v35
	;; [unrolled: 1-line block ×6, first 2 shown]
	s_xor_b32 exec_lo, exec_lo, s0
	s_cbranch_execz .LBB0_17
; %bb.16:
	v_mov_b32_e32 v7, 0
	s_waitcnt lgkmcnt(0)
	v_alignbit_b32 v6, s0, v15, 16
	ds_read_u16 v11, v7 offset:1570
	v_pk_add_f16 v21, v6, v15
	v_sub_f16_sdwa v6, v15, v15 dst_sel:DWORD dst_unused:UNUSED_PAD src0_sel:DWORD src1_sel:WORD_1
	s_waitcnt lgkmcnt(0)
	v_xor_b32_e32 v15, 0x8000, v11
	v_pack_b32_f16 v11, v21, 0
	ds_write_b16 v7, v15 offset:1570
.LBB0_17:
	s_or_b32 exec_lo, exec_lo, s0
	s_waitcnt lgkmcnt(0)
	v_mov_b32_e32 v15, 0
	ds_write_b16 v0, v7 offset:3138
	v_add_nc_u32_e32 v22, v33, v22
	v_add_nc_u32_e32 v5, v32, v5
	;; [unrolled: 1-line block ×3, first 2 shown]
	v_lshlrev_b64 v[23:24], 2, v[14:15]
	v_mov_b32_e32 v21, v15
	v_add_nc_u32_e32 v3, v29, v3
	v_add_nc_u32_e32 v2, v28, v2
	;; [unrolled: 1-line block ×3, first 2 shown]
	v_lshlrev_b64 v[20:21], 2, v[20:21]
	v_add_co_u32 v23, s0, s1, v23
	v_add_co_ci_u32_e64 v24, s0, s4, v24, s0
	v_add_co_u32 v20, s0, s1, v20
	global_load_dword v14, v[23:24], off
	v_add_co_ci_u32_e64 v21, s0, s4, v21, s0
	global_load_dword v21, v[20:21], off
	v_mov_b32_e32 v20, v15
	v_lshlrev_b64 v[19:20], 2, v[19:20]
	v_add_co_u32 v19, s0, s1, v19
	v_add_co_ci_u32_e64 v20, s0, s4, v20, s0
	global_load_dword v20, v[19:20], off
	v_mov_b32_e32 v19, v15
	v_lshlrev_b64 v[18:19], 2, v[18:19]
	v_add_co_u32 v18, s0, s1, v18
	;; [unrolled: 5-line block ×3, first 2 shown]
	v_add_co_ci_u32_e64 v18, s0, s4, v18, s0
	global_load_dword v18, v[17:18], off
	v_mov_b32_e32 v17, v15
	ds_write_b32 v31, v11
	ds_write_b16 v0, v6 offset:3136
	ds_read_b32 v11, v0 offset:2912
	ds_read_b32 v23, v22
	v_lshlrev_b64 v[16:17], 2, v[16:17]
	v_add_co_u32 v6, s0, s1, v16
	v_add_co_ci_u32_e64 v7, s0, s4, v17, s0
	global_load_dword v6, v[6:7], off
	s_waitcnt lgkmcnt(0)
	v_pk_add_f16 v7, v23, v11 neg_lo:[0,1] neg_hi:[0,1]
	v_pk_add_f16 v11, v23, v11
	v_bfi_b32 v16, 0xffff, v7, v11
	v_bfi_b32 v7, 0xffff, v11, v7
	v_pk_mul_f16 v11, v16, 0.5 op_sel_hi:[1,0]
	v_pk_mul_f16 v7, v7, 0.5 op_sel_hi:[1,0]
	s_waitcnt vmcnt(5)
	v_pk_fma_f16 v16, v14, v11, v7 op_sel:[1,0,0]
	v_pk_mul_f16 v17, v14, v11 op_sel_hi:[0,1]
	v_pk_fma_f16 v23, v14, v11, v7 op_sel:[1,0,0] neg_lo:[1,0,0] neg_hi:[1,0,0]
	v_pk_fma_f16 v7, v14, v11, v7 op_sel:[1,0,0] neg_lo:[0,0,1] neg_hi:[0,0,1]
	v_pk_add_f16 v11, v16, v17 op_sel:[0,1] op_sel_hi:[1,0]
	v_pk_add_f16 v14, v16, v17 op_sel:[0,1] op_sel_hi:[1,0] neg_lo:[0,1] neg_hi:[0,1]
	v_pk_add_f16 v16, v23, v17 op_sel:[0,1] op_sel_hi:[1,0] neg_lo:[0,1] neg_hi:[0,1]
	v_pk_add_f16 v7, v7, v17 op_sel:[0,1] op_sel_hi:[1,0] neg_lo:[0,1] neg_hi:[0,1]
	v_bfi_b32 v11, 0xffff, v11, v14
	v_bfi_b32 v7, 0xffff, v16, v7
	ds_write_b32 v22, v11
	ds_write_b32 v0, v7 offset:2912
	ds_read_b32 v7, v5
	ds_read_b32 v11, v0 offset:2688
	s_waitcnt lgkmcnt(0)
	v_pk_add_f16 v14, v7, v11 neg_lo:[0,1] neg_hi:[0,1]
	v_pk_add_f16 v7, v7, v11
	v_bfi_b32 v11, 0xffff, v14, v7
	v_bfi_b32 v7, 0xffff, v7, v14
	v_pk_mul_f16 v11, v11, 0.5 op_sel_hi:[1,0]
	v_pk_mul_f16 v7, v7, 0.5 op_sel_hi:[1,0]
	s_waitcnt vmcnt(4)
	v_pk_mul_f16 v16, v21, v11 op_sel_hi:[0,1]
	v_pk_fma_f16 v14, v21, v11, v7 op_sel:[1,0,0]
	v_pk_fma_f16 v17, v21, v11, v7 op_sel:[1,0,0] neg_lo:[1,0,0] neg_hi:[1,0,0]
	v_pk_fma_f16 v7, v21, v11, v7 op_sel:[1,0,0] neg_lo:[0,0,1] neg_hi:[0,0,1]
	v_pk_add_f16 v11, v14, v16 op_sel:[0,1] op_sel_hi:[1,0]
	v_pk_add_f16 v14, v14, v16 op_sel:[0,1] op_sel_hi:[1,0] neg_lo:[0,1] neg_hi:[0,1]
	v_pk_add_f16 v17, v17, v16 op_sel:[0,1] op_sel_hi:[1,0] neg_lo:[0,1] neg_hi:[0,1]
	v_pk_add_f16 v7, v7, v16 op_sel:[0,1] op_sel_hi:[1,0] neg_lo:[0,1] neg_hi:[0,1]
	v_bfi_b32 v11, 0xffff, v11, v14
	v_bfi_b32 v7, 0xffff, v17, v7
	ds_write_b32 v5, v11
	ds_write_b32 v0, v7 offset:2688
	ds_read_b32 v5, v4
	ds_read_b32 v7, v0 offset:2464
	s_waitcnt lgkmcnt(0)
	v_pk_add_f16 v11, v5, v7 neg_lo:[0,1] neg_hi:[0,1]
	v_pk_add_f16 v5, v5, v7
	v_bfi_b32 v7, 0xffff, v11, v5
	v_bfi_b32 v5, 0xffff, v5, v11
	v_pk_mul_f16 v7, v7, 0.5 op_sel_hi:[1,0]
	v_pk_mul_f16 v5, v5, 0.5 op_sel_hi:[1,0]
	s_waitcnt vmcnt(3)
	v_pk_mul_f16 v14, v20, v7 op_sel_hi:[0,1]
	v_pk_fma_f16 v11, v20, v7, v5 op_sel:[1,0,0]
	;; [unrolled: 22-line block ×5, first 2 shown]
	v_pk_fma_f16 v7, v6, v3, v2 op_sel:[1,0,0] neg_lo:[1,0,0] neg_hi:[1,0,0]
	v_pk_fma_f16 v2, v6, v3, v2 op_sel:[1,0,0] neg_lo:[0,0,1] neg_hi:[0,0,1]
	v_pk_add_f16 v3, v4, v5 op_sel:[0,1] op_sel_hi:[1,0]
	v_pk_add_f16 v4, v4, v5 op_sel:[0,1] op_sel_hi:[1,0] neg_lo:[0,1] neg_hi:[0,1]
	v_pk_add_f16 v6, v7, v5 op_sel:[0,1] op_sel_hi:[1,0] neg_lo:[0,1] neg_hi:[0,1]
	;; [unrolled: 1-line block ×3, first 2 shown]
	v_bfi_b32 v3, 0xffff, v3, v4
	v_bfi_b32 v2, 0xffff, v6, v2
	ds_write_b32 v1, v3
	ds_write_b32 v0, v2 offset:1792
	s_waitcnt lgkmcnt(0)
	s_barrier
	buffer_gl0_inv
	s_and_saveexec_b32 s0, vcc_lo
	s_cbranch_execz .LBB0_20
; %bb.18:
	v_mul_lo_u32 v2, s3, v12
	v_mul_lo_u32 v3, s2, v13
	v_mad_u64_u32 v[0:1], null, s2, v12, 0
	v_lshl_add_u32 v13, v10, 2, 0
	v_mov_b32_e32 v11, v15
	v_add_nc_u32_e32 v14, 56, v10
	ds_read2_b32 v[4:5], v13 offset1:56
	v_add3_u32 v1, v1, v3, v2
	v_lshlrev_b64 v[2:3], 2, v[8:9]
	v_lshlrev_b64 v[6:7], 2, v[10:11]
	;; [unrolled: 1-line block ×3, first 2 shown]
	v_add_nc_u32_e32 v14, 0x70, v10
	v_lshlrev_b64 v[0:1], 2, v[0:1]
	v_add_nc_u32_e32 v18, 0x400, v13
	v_lshlrev_b64 v[11:12], 2, v[14:15]
	v_add_nc_u32_e32 v14, 0xa8, v10
	v_add_co_u32 v0, vcc_lo, s10, v0
	v_add_co_ci_u32_e32 v1, vcc_lo, s11, v1, vcc_lo
	v_add_co_u32 v0, vcc_lo, v0, v2
	v_add_co_ci_u32_e32 v1, vcc_lo, v1, v3, vcc_lo
	;; [unrolled: 2-line block ×4, first 2 shown]
	ds_read2_b32 v[8:9], v13 offset0:112 offset1:168
	s_waitcnt lgkmcnt(1)
	global_store_dword v[2:3], v4, off
	global_store_dword v[6:7], v5, off
	v_lshlrev_b64 v[2:3], 2, v[14:15]
	v_add_co_u32 v4, vcc_lo, v0, v11
	v_add_co_ci_u32_e32 v5, vcc_lo, v1, v12, vcc_lo
	v_add_nc_u32_e32 v14, 0xe0, v10
	v_add_co_u32 v2, vcc_lo, v0, v2
	v_add_co_ci_u32_e32 v3, vcc_lo, v1, v3, vcc_lo
	v_add_nc_u32_e32 v11, 0x200, v13
	v_lshlrev_b64 v[6:7], 2, v[14:15]
	v_add_nc_u32_e32 v14, 0x118, v10
	s_waitcnt lgkmcnt(0)
	global_store_dword v[4:5], v8, off
	global_store_dword v[2:3], v9, off
	ds_read2_b32 v[2:3], v11 offset0:96 offset1:152
	ds_read2_b32 v[8:9], v18 offset0:80 offset1:136
	v_lshlrev_b64 v[4:5], 2, v[14:15]
	v_add_nc_u32_e32 v14, 0x150, v10
	v_add_co_u32 v6, vcc_lo, v0, v6
	v_add_co_ci_u32_e32 v7, vcc_lo, v1, v7, vcc_lo
	v_lshlrev_b64 v[11:12], 2, v[14:15]
	v_add_co_u32 v4, vcc_lo, v0, v4
	v_add_co_ci_u32_e32 v5, vcc_lo, v1, v5, vcc_lo
	v_add_nc_u32_e32 v14, 0x188, v10
	v_add_co_u32 v11, vcc_lo, v0, v11
	v_add_co_ci_u32_e32 v12, vcc_lo, v1, v12, vcc_lo
	v_lshlrev_b64 v[16:17], 2, v[14:15]
	v_add_nc_u32_e32 v14, 0x1c0, v10
	s_waitcnt lgkmcnt(1)
	global_store_dword v[6:7], v2, off
	global_store_dword v[4:5], v3, off
	s_waitcnt lgkmcnt(0)
	global_store_dword v[11:12], v8, off
	ds_read2_b32 v[2:3], v18 offset0:192 offset1:248
	v_add_nc_u32_e32 v8, 0x800, v13
	v_lshlrev_b64 v[4:5], 2, v[14:15]
	v_add_nc_u32_e32 v14, 0x1f8, v10
	v_add_co_u32 v6, vcc_lo, v0, v16
	v_add_co_ci_u32_e32 v7, vcc_lo, v1, v17, vcc_lo
	v_lshlrev_b64 v[11:12], 2, v[14:15]
	v_add_nc_u32_e32 v14, 0x230, v10
	v_add_co_u32 v4, vcc_lo, v0, v4
	v_add_co_ci_u32_e32 v5, vcc_lo, v1, v5, vcc_lo
	v_add_co_u32 v11, vcc_lo, v0, v11
	v_lshlrev_b64 v[16:17], 2, v[14:15]
	v_add_nc_u32_e32 v14, 0x268, v10
	v_add_co_ci_u32_e32 v12, vcc_lo, v1, v12, vcc_lo
	global_store_dword v[6:7], v9, off
	s_waitcnt lgkmcnt(0)
	global_store_dword v[4:5], v2, off
	global_store_dword v[11:12], v3, off
	v_lshlrev_b64 v[4:5], 2, v[14:15]
	v_add_nc_u32_e32 v14, 0x2a0, v10
	ds_read2_b32 v[2:3], v8 offset0:48 offset1:104
	ds_read2_b32 v[6:7], v8 offset0:160 offset1:216
	v_add_co_u32 v8, vcc_lo, v0, v16
	v_lshlrev_b64 v[11:12], 2, v[14:15]
	v_add_nc_u32_e32 v14, 0x2d8, v10
	v_add_co_ci_u32_e32 v9, vcc_lo, v1, v17, vcc_lo
	v_add_co_u32 v4, vcc_lo, v0, v4
	v_lshlrev_b64 v[13:14], 2, v[14:15]
	v_add_co_ci_u32_e32 v5, vcc_lo, v1, v5, vcc_lo
	v_add_co_u32 v11, vcc_lo, v0, v11
	v_add_co_ci_u32_e32 v12, vcc_lo, v1, v12, vcc_lo
	v_add_co_u32 v13, vcc_lo, v0, v13
	v_add_co_ci_u32_e32 v14, vcc_lo, v1, v14, vcc_lo
	v_cmp_eq_u32_e32 vcc_lo, 55, v10
	s_waitcnt lgkmcnt(1)
	global_store_dword v[8:9], v2, off
	global_store_dword v[4:5], v3, off
	s_waitcnt lgkmcnt(0)
	global_store_dword v[11:12], v6, off
	global_store_dword v[13:14], v7, off
	s_and_b32 exec_lo, exec_lo, vcc_lo
	s_cbranch_execz .LBB0_20
; %bb.19:
	v_mov_b32_e32 v2, 0
	v_add_co_u32 v0, vcc_lo, 0x800, v0
	v_add_co_ci_u32_e32 v1, vcc_lo, 0, v1, vcc_lo
	ds_read_b32 v2, v2 offset:3136
	s_waitcnt lgkmcnt(0)
	global_store_dword v[0:1], v2, off offset:1088
.LBB0_20:
	s_endpgm
	.section	.rodata,"a",@progbits
	.p2align	6, 0x0
	.amdhsa_kernel fft_rtc_fwd_len784_factors_2_2_2_2_7_7_wgs_56_tpt_56_halfLds_half_op_CI_CI_unitstride_sbrr_R2C_dirReg
		.amdhsa_group_segment_fixed_size 0
		.amdhsa_private_segment_fixed_size 0
		.amdhsa_kernarg_size 104
		.amdhsa_user_sgpr_count 6
		.amdhsa_user_sgpr_private_segment_buffer 1
		.amdhsa_user_sgpr_dispatch_ptr 0
		.amdhsa_user_sgpr_queue_ptr 0
		.amdhsa_user_sgpr_kernarg_segment_ptr 1
		.amdhsa_user_sgpr_dispatch_id 0
		.amdhsa_user_sgpr_flat_scratch_init 0
		.amdhsa_user_sgpr_private_segment_size 0
		.amdhsa_wavefront_size32 1
		.amdhsa_uses_dynamic_stack 0
		.amdhsa_system_sgpr_private_segment_wavefront_offset 0
		.amdhsa_system_sgpr_workgroup_id_x 1
		.amdhsa_system_sgpr_workgroup_id_y 0
		.amdhsa_system_sgpr_workgroup_id_z 0
		.amdhsa_system_sgpr_workgroup_info 0
		.amdhsa_system_vgpr_workitem_id 0
		.amdhsa_next_free_vgpr 74
		.amdhsa_next_free_sgpr 27
		.amdhsa_reserve_vcc 1
		.amdhsa_reserve_flat_scratch 0
		.amdhsa_float_round_mode_32 0
		.amdhsa_float_round_mode_16_64 0
		.amdhsa_float_denorm_mode_32 3
		.amdhsa_float_denorm_mode_16_64 3
		.amdhsa_dx10_clamp 1
		.amdhsa_ieee_mode 1
		.amdhsa_fp16_overflow 0
		.amdhsa_workgroup_processor_mode 1
		.amdhsa_memory_ordered 1
		.amdhsa_forward_progress 0
		.amdhsa_shared_vgpr_count 0
		.amdhsa_exception_fp_ieee_invalid_op 0
		.amdhsa_exception_fp_denorm_src 0
		.amdhsa_exception_fp_ieee_div_zero 0
		.amdhsa_exception_fp_ieee_overflow 0
		.amdhsa_exception_fp_ieee_underflow 0
		.amdhsa_exception_fp_ieee_inexact 0
		.amdhsa_exception_int_div_zero 0
	.end_amdhsa_kernel
	.text
.Lfunc_end0:
	.size	fft_rtc_fwd_len784_factors_2_2_2_2_7_7_wgs_56_tpt_56_halfLds_half_op_CI_CI_unitstride_sbrr_R2C_dirReg, .Lfunc_end0-fft_rtc_fwd_len784_factors_2_2_2_2_7_7_wgs_56_tpt_56_halfLds_half_op_CI_CI_unitstride_sbrr_R2C_dirReg
                                        ; -- End function
	.section	.AMDGPU.csdata,"",@progbits
; Kernel info:
; codeLenInByte = 10060
; NumSgprs: 29
; NumVgprs: 74
; ScratchSize: 0
; MemoryBound: 0
; FloatMode: 240
; IeeeMode: 1
; LDSByteSize: 0 bytes/workgroup (compile time only)
; SGPRBlocks: 3
; VGPRBlocks: 9
; NumSGPRsForWavesPerEU: 29
; NumVGPRsForWavesPerEU: 74
; Occupancy: 12
; WaveLimiterHint : 1
; COMPUTE_PGM_RSRC2:SCRATCH_EN: 0
; COMPUTE_PGM_RSRC2:USER_SGPR: 6
; COMPUTE_PGM_RSRC2:TRAP_HANDLER: 0
; COMPUTE_PGM_RSRC2:TGID_X_EN: 1
; COMPUTE_PGM_RSRC2:TGID_Y_EN: 0
; COMPUTE_PGM_RSRC2:TGID_Z_EN: 0
; COMPUTE_PGM_RSRC2:TIDIG_COMP_CNT: 0
	.text
	.p2alignl 6, 3214868480
	.fill 48, 4, 3214868480
	.type	__hip_cuid_fe75824a4886a1bc,@object ; @__hip_cuid_fe75824a4886a1bc
	.section	.bss,"aw",@nobits
	.globl	__hip_cuid_fe75824a4886a1bc
__hip_cuid_fe75824a4886a1bc:
	.byte	0                               ; 0x0
	.size	__hip_cuid_fe75824a4886a1bc, 1

	.ident	"AMD clang version 19.0.0git (https://github.com/RadeonOpenCompute/llvm-project roc-6.4.0 25133 c7fe45cf4b819c5991fe208aaa96edf142730f1d)"
	.section	".note.GNU-stack","",@progbits
	.addrsig
	.addrsig_sym __hip_cuid_fe75824a4886a1bc
	.amdgpu_metadata
---
amdhsa.kernels:
  - .args:
      - .actual_access:  read_only
        .address_space:  global
        .offset:         0
        .size:           8
        .value_kind:     global_buffer
      - .offset:         8
        .size:           8
        .value_kind:     by_value
      - .actual_access:  read_only
        .address_space:  global
        .offset:         16
        .size:           8
        .value_kind:     global_buffer
      - .actual_access:  read_only
        .address_space:  global
        .offset:         24
        .size:           8
        .value_kind:     global_buffer
      - .actual_access:  read_only
        .address_space:  global
        .offset:         32
        .size:           8
        .value_kind:     global_buffer
      - .offset:         40
        .size:           8
        .value_kind:     by_value
      - .actual_access:  read_only
        .address_space:  global
        .offset:         48
        .size:           8
        .value_kind:     global_buffer
      - .actual_access:  read_only
        .address_space:  global
        .offset:         56
        .size:           8
        .value_kind:     global_buffer
      - .offset:         64
        .size:           4
        .value_kind:     by_value
      - .actual_access:  read_only
        .address_space:  global
        .offset:         72
        .size:           8
        .value_kind:     global_buffer
      - .actual_access:  read_only
        .address_space:  global
        .offset:         80
        .size:           8
        .value_kind:     global_buffer
      - .actual_access:  read_only
        .address_space:  global
        .offset:         88
        .size:           8
        .value_kind:     global_buffer
      - .actual_access:  write_only
        .address_space:  global
        .offset:         96
        .size:           8
        .value_kind:     global_buffer
    .group_segment_fixed_size: 0
    .kernarg_segment_align: 8
    .kernarg_segment_size: 104
    .language:       OpenCL C
    .language_version:
      - 2
      - 0
    .max_flat_workgroup_size: 56
    .name:           fft_rtc_fwd_len784_factors_2_2_2_2_7_7_wgs_56_tpt_56_halfLds_half_op_CI_CI_unitstride_sbrr_R2C_dirReg
    .private_segment_fixed_size: 0
    .sgpr_count:     29
    .sgpr_spill_count: 0
    .symbol:         fft_rtc_fwd_len784_factors_2_2_2_2_7_7_wgs_56_tpt_56_halfLds_half_op_CI_CI_unitstride_sbrr_R2C_dirReg.kd
    .uniform_work_group_size: 1
    .uses_dynamic_stack: false
    .vgpr_count:     74
    .vgpr_spill_count: 0
    .wavefront_size: 32
    .workgroup_processor_mode: 1
amdhsa.target:   amdgcn-amd-amdhsa--gfx1030
amdhsa.version:
  - 1
  - 2
...

	.end_amdgpu_metadata
